;; amdgpu-corpus repo=ROCm/rocFFT kind=compiled arch=gfx906 opt=O3
	.text
	.amdgcn_target "amdgcn-amd-amdhsa--gfx906"
	.amdhsa_code_object_version 6
	.protected	fft_rtc_fwd_len240_factors_8_5_6_wgs_384_tpt_48_sp_op_CI_CI_sbcc_twdbase8_3step_dirReg_intrinsicReadWrite ; -- Begin function fft_rtc_fwd_len240_factors_8_5_6_wgs_384_tpt_48_sp_op_CI_CI_sbcc_twdbase8_3step_dirReg_intrinsicReadWrite
	.globl	fft_rtc_fwd_len240_factors_8_5_6_wgs_384_tpt_48_sp_op_CI_CI_sbcc_twdbase8_3step_dirReg_intrinsicReadWrite
	.p2align	8
	.type	fft_rtc_fwd_len240_factors_8_5_6_wgs_384_tpt_48_sp_op_CI_CI_sbcc_twdbase8_3step_dirReg_intrinsicReadWrite,@function
fft_rtc_fwd_len240_factors_8_5_6_wgs_384_tpt_48_sp_op_CI_CI_sbcc_twdbase8_3step_dirReg_intrinsicReadWrite: ; @fft_rtc_fwd_len240_factors_8_5_6_wgs_384_tpt_48_sp_op_CI_CI_sbcc_twdbase8_3step_dirReg_intrinsicReadWrite
; %bb.0:
	s_load_dwordx4 s[0:3], s[4:5], 0x18
	s_load_dwordx2 s[30:31], s[4:5], 0x28
	s_mov_b32 s7, 0
	s_mov_b64 s[26:27], 0
	s_waitcnt lgkmcnt(0)
	s_load_dwordx2 s[28:29], s[0:1], 0x8
	s_waitcnt lgkmcnt(0)
	s_add_u32 s8, s28, -1
	s_addc_u32 s9, s29, -1
	s_lshr_b64 s[8:9], s[8:9], 3
	s_add_u32 s34, s8, 1
	s_addc_u32 s35, s9, 0
	v_mov_b32_e32 v1, s34
	v_mov_b32_e32 v2, s35
	v_cmp_lt_u64_e32 vcc, s[6:7], v[1:2]
	s_cbranch_vccnz .LBB0_2
; %bb.1:
	v_cvt_f32_u32_e32 v1, s34
	s_sub_i32 s8, 0, s34
	s_mov_b32 s27, s7
	v_rcp_iflag_f32_e32 v1, v1
	v_mul_f32_e32 v1, 0x4f7ffffe, v1
	v_cvt_u32_f32_e32 v1, v1
	v_readfirstlane_b32 s9, v1
	s_mul_i32 s8, s8, s9
	s_mul_hi_u32 s8, s9, s8
	s_add_i32 s9, s9, s8
	s_mul_hi_u32 s8, s6, s9
	s_mul_i32 s10, s8, s34
	s_sub_i32 s10, s6, s10
	s_add_i32 s9, s8, 1
	s_sub_i32 s11, s10, s34
	s_cmp_ge_u32 s10, s34
	s_cselect_b32 s8, s9, s8
	s_cselect_b32 s10, s11, s10
	s_add_i32 s9, s8, 1
	s_cmp_ge_u32 s10, s34
	s_cselect_b32 s26, s9, s8
.LBB0_2:
	s_load_dwordx4 s[12:15], s[4:5], 0x60
	s_load_dwordx4 s[20:23], s[2:3], 0x0
	s_load_dwordx4 s[8:11], s[30:31], 0x0
	s_waitcnt lgkmcnt(0)
	s_mul_i32 s9, s26, s35
	s_mul_hi_u32 s16, s26, s34
	s_add_i32 s16, s16, s9
	s_mul_i32 s9, s26, s34
	s_sub_u32 s36, s6, s9
	s_subb_u32 s37, 0, s16
	v_mov_b32_e32 v1, s36
	v_alignbit_b32 v1, s37, v1, 29
	v_mul_lo_u32 v2, s22, v1
	s_load_dwordx2 s[24:25], s[4:5], 0x0
	s_load_dwordx4 s[16:19], s[4:5], 0x8
	s_lshl_b64 s[4:5], s[36:37], 3
	s_mul_hi_u32 s9, s22, s4
	v_mul_lo_u32 v1, s10, v1
	v_add_u32_e32 v2, s9, v2
	s_mul_i32 s9, s23, s4
	v_add_u32_e32 v4, s9, v2
	s_mul_i32 s9, s22, s4
	v_mov_b32_e32 v3, s9
	s_mul_hi_u32 s9, s10, s4
	v_add_u32_e32 v1, s9, v1
	s_mul_i32 s9, s11, s4
	s_waitcnt lgkmcnt(0)
	v_cmp_lt_u64_e64 s[36:37], s[18:19], 3
	v_add_u32_e32 v5, s9, v1
	s_mul_i32 s9, s10, s4
	v_mov_b32_e32 v16, s9
	s_and_b64 vcc, exec, s[36:37]
	s_cbranch_vccnz .LBB0_11
; %bb.3:
	s_add_u32 s36, s30, 16
	s_addc_u32 s37, s31, 0
	s_add_u32 s38, s2, 16
	s_addc_u32 s39, s3, 0
	s_add_u32 s40, s0, 16
	v_mov_b32_e32 v1, s18
	s_addc_u32 s41, s1, 0
	s_mov_b64 s[42:43], 2
	s_mov_b32 s44, 0
	v_mov_b32_e32 v2, s19
	s_branch .LBB0_5
.LBB0_4:                                ;   in Loop: Header=BB0_5 Depth=1
	s_mul_i32 s9, s46, s35
	s_mul_hi_u32 s11, s46, s34
	s_add_i32 s9, s11, s9
	s_mul_i32 s11, s47, s34
	s_add_i32 s35, s9, s11
	s_mul_i32 s9, s0, s47
	s_mul_hi_u32 s11, s0, s46
	s_add_i32 s9, s11, s9
	s_mul_i32 s11, s1, s46
	s_load_dwordx2 s[48:49], s[38:39], 0x0
	s_add_i32 s9, s9, s11
	s_mul_i32 s11, s0, s46
	s_sub_u32 s11, s26, s11
	s_subb_u32 s9, s27, s9
	s_load_dwordx2 s[26:27], s[36:37], 0x0
	s_waitcnt lgkmcnt(0)
	s_mul_i32 s21, s48, s9
	s_mul_hi_u32 s23, s48, s11
	s_add_i32 s21, s23, s21
	s_mul_i32 s23, s49, s11
	s_add_i32 s21, s21, s23
	v_mov_b32_e32 v6, s21
	s_mul_i32 s9, s26, s9
	s_mul_hi_u32 s21, s26, s11
	s_add_i32 s9, s21, s9
	s_mul_i32 s21, s27, s11
	s_add_i32 s9, s9, s21
	s_mul_i32 s23, s48, s11
	s_add_u32 s42, s42, 1
	v_add_co_u32_e32 v3, vcc, s23, v3
	s_addc_u32 s43, s43, 0
	v_addc_co_u32_e32 v4, vcc, v6, v4, vcc
	s_mul_i32 s11, s26, s11
	s_add_u32 s36, s36, 8
	v_mov_b32_e32 v6, s9
	v_add_co_u32_e32 v16, vcc, s11, v16
	s_addc_u32 s37, s37, 0
	v_addc_co_u32_e32 v5, vcc, v6, v5, vcc
	s_add_u32 s38, s38, 8
	s_addc_u32 s39, s39, 0
	v_cmp_ge_u64_e32 vcc, s[42:43], v[1:2]
	s_add_u32 s40, s40, 8
	s_mul_i32 s34, s46, s34
	s_addc_u32 s41, s41, 0
	s_mov_b64 s[26:27], s[0:1]
	s_cbranch_vccnz .LBB0_9
.LBB0_5:                                ; =>This Inner Loop Header: Depth=1
	s_load_dwordx2 s[46:47], s[40:41], 0x0
	s_waitcnt lgkmcnt(0)
	s_or_b64 s[0:1], s[26:27], s[46:47]
	s_mov_b32 s45, s1
	s_cmp_lg_u64 s[44:45], 0
	s_cbranch_scc0 .LBB0_7
; %bb.6:                                ;   in Loop: Header=BB0_5 Depth=1
	v_cvt_f32_u32_e32 v6, s46
	v_cvt_f32_u32_e32 v7, s47
	s_sub_u32 s0, 0, s46
	s_subb_u32 s1, 0, s47
	v_mac_f32_e32 v6, 0x4f800000, v7
	v_rcp_f32_e32 v6, v6
	v_mul_f32_e32 v6, 0x5f7ffffc, v6
	v_mul_f32_e32 v7, 0x2f800000, v6
	v_trunc_f32_e32 v7, v7
	v_mac_f32_e32 v6, 0xcf800000, v7
	v_cvt_u32_f32_e32 v7, v7
	v_cvt_u32_f32_e32 v6, v6
	v_readfirstlane_b32 s9, v7
	v_readfirstlane_b32 s11, v6
	s_mul_i32 s21, s0, s9
	s_mul_hi_u32 s33, s0, s11
	s_mul_i32 s23, s1, s11
	s_add_i32 s21, s33, s21
	s_mul_i32 s45, s0, s11
	s_add_i32 s21, s21, s23
	s_mul_hi_u32 s23, s11, s21
	s_mul_i32 s33, s11, s21
	s_mul_hi_u32 s11, s11, s45
	s_add_u32 s11, s11, s33
	s_addc_u32 s23, 0, s23
	s_mul_hi_u32 s48, s9, s45
	s_mul_i32 s45, s9, s45
	s_add_u32 s11, s11, s45
	s_mul_hi_u32 s33, s9, s21
	s_addc_u32 s11, s23, s48
	s_addc_u32 s23, s33, 0
	s_mul_i32 s21, s9, s21
	s_add_u32 s11, s11, s21
	s_addc_u32 s21, 0, s23
	v_add_co_u32_e32 v6, vcc, s11, v6
	s_cmp_lg_u64 vcc, 0
	s_addc_u32 s9, s9, s21
	v_readfirstlane_b32 s21, v6
	s_mul_i32 s11, s0, s9
	s_mul_hi_u32 s23, s0, s21
	s_add_i32 s11, s23, s11
	s_mul_i32 s1, s1, s21
	s_add_i32 s11, s11, s1
	s_mul_i32 s0, s0, s21
	s_mul_hi_u32 s23, s9, s0
	s_mul_i32 s33, s9, s0
	s_mul_i32 s48, s21, s11
	s_mul_hi_u32 s0, s21, s0
	s_mul_hi_u32 s45, s21, s11
	s_add_u32 s0, s0, s48
	s_addc_u32 s21, 0, s45
	s_add_u32 s0, s0, s33
	s_mul_hi_u32 s1, s9, s11
	s_addc_u32 s0, s21, s23
	s_addc_u32 s1, s1, 0
	s_mul_i32 s11, s9, s11
	s_add_u32 s0, s0, s11
	s_addc_u32 s1, 0, s1
	v_add_co_u32_e32 v6, vcc, s0, v6
	s_cmp_lg_u64 vcc, 0
	s_addc_u32 s0, s9, s1
	v_readfirstlane_b32 s11, v6
	s_mul_i32 s9, s26, s0
	s_mul_hi_u32 s21, s26, s11
	s_mul_hi_u32 s1, s26, s0
	s_add_u32 s9, s21, s9
	s_addc_u32 s1, 0, s1
	s_mul_hi_u32 s23, s27, s11
	s_mul_i32 s11, s27, s11
	s_add_u32 s9, s9, s11
	s_mul_hi_u32 s21, s27, s0
	s_addc_u32 s1, s1, s23
	s_addc_u32 s9, s21, 0
	s_mul_i32 s0, s27, s0
	s_add_u32 s11, s1, s0
	s_addc_u32 s9, 0, s9
	s_mul_i32 s0, s46, s9
	s_mul_hi_u32 s1, s46, s11
	s_add_i32 s0, s1, s0
	s_mul_i32 s1, s47, s11
	s_add_i32 s21, s0, s1
	s_mul_i32 s1, s46, s11
	v_mov_b32_e32 v6, s1
	s_sub_i32 s0, s27, s21
	v_sub_co_u32_e32 v6, vcc, s26, v6
	s_cmp_lg_u64 vcc, 0
	s_subb_u32 s23, s0, s47
	v_subrev_co_u32_e64 v7, s[0:1], s46, v6
	s_cmp_lg_u64 s[0:1], 0
	s_subb_u32 s0, s23, 0
	s_cmp_ge_u32 s0, s47
	v_readfirstlane_b32 s23, v7
	s_cselect_b32 s1, -1, 0
	s_cmp_ge_u32 s23, s46
	s_cselect_b32 s23, -1, 0
	s_cmp_eq_u32 s0, s47
	s_cselect_b32 s0, s23, s1
	s_add_u32 s1, s11, 1
	s_addc_u32 s23, s9, 0
	s_add_u32 s33, s11, 2
	s_addc_u32 s45, s9, 0
	s_cmp_lg_u32 s0, 0
	s_cselect_b32 s0, s33, s1
	s_cselect_b32 s1, s45, s23
	s_cmp_lg_u64 vcc, 0
	s_subb_u32 s21, s27, s21
	s_cmp_ge_u32 s21, s47
	v_readfirstlane_b32 s33, v6
	s_cselect_b32 s23, -1, 0
	s_cmp_ge_u32 s33, s46
	s_cselect_b32 s33, -1, 0
	s_cmp_eq_u32 s21, s47
	s_cselect_b32 s21, s33, s23
	s_cmp_lg_u32 s21, 0
	s_cselect_b32 s1, s1, s9
	s_cselect_b32 s0, s0, s11
	s_cbranch_execnz .LBB0_4
	s_branch .LBB0_8
.LBB0_7:                                ;   in Loop: Header=BB0_5 Depth=1
                                        ; implicit-def: $sgpr0_sgpr1
.LBB0_8:                                ;   in Loop: Header=BB0_5 Depth=1
	v_cvt_f32_u32_e32 v6, s46
	s_sub_i32 s0, 0, s46
	v_rcp_iflag_f32_e32 v6, v6
	v_mul_f32_e32 v6, 0x4f7ffffe, v6
	v_cvt_u32_f32_e32 v6, v6
	v_readfirstlane_b32 s1, v6
	s_mul_i32 s0, s0, s1
	s_mul_hi_u32 s0, s1, s0
	s_add_i32 s1, s1, s0
	s_mul_hi_u32 s0, s26, s1
	s_mul_i32 s9, s0, s46
	s_sub_i32 s9, s26, s9
	s_add_i32 s1, s0, 1
	s_sub_i32 s11, s9, s46
	s_cmp_ge_u32 s9, s46
	s_cselect_b32 s0, s1, s0
	s_cselect_b32 s9, s11, s9
	s_add_i32 s1, s0, 1
	s_cmp_ge_u32 s9, s46
	s_cselect_b32 s0, s1, s0
	s_mov_b32 s1, s44
	s_branch .LBB0_4
.LBB0_9:
	v_mov_b32_e32 v1, s34
	v_mov_b32_e32 v2, s35
	v_cmp_lt_u64_e32 vcc, s[6:7], v[1:2]
	s_mov_b64 s[26:27], 0
	s_cbranch_vccnz .LBB0_11
; %bb.10:
	v_cvt_f32_u32_e32 v1, s34
	s_sub_i32 s0, 0, s34
	v_rcp_iflag_f32_e32 v1, v1
	v_mul_f32_e32 v1, 0x4f7ffffe, v1
	v_cvt_u32_f32_e32 v1, v1
	v_readfirstlane_b32 s1, v1
	s_mul_i32 s0, s0, s1
	s_mul_hi_u32 s0, s1, s0
	s_add_i32 s1, s1, s0
	s_mul_hi_u32 s0, s6, s1
	s_mul_i32 s7, s0, s34
	s_sub_i32 s6, s6, s7
	s_add_i32 s1, s0, 1
	s_sub_i32 s7, s6, s34
	s_cmp_ge_u32 s6, s34
	s_cselect_b32 s0, s1, s0
	s_cselect_b32 s6, s7, s6
	s_add_i32 s1, s0, 1
	s_cmp_ge_u32 s6, s34
	s_cselect_b32 s26, s1, s0
.LBB0_11:
	s_lshl_b64 s[0:1], s[18:19], 3
	s_add_u32 s2, s2, s0
	s_addc_u32 s3, s3, s1
	s_load_dword s2, s[2:3], 0x0
	s_add_u32 s18, s30, s0
	s_addc_u32 s19, s31, s1
	v_and_b32_e32 v15, 7, v0
	s_add_u32 s0, s4, 8
	s_waitcnt lgkmcnt(0)
	s_mul_i32 s2, s2, s26
	v_add_u32_e32 v3, s2, v3
	v_mov_b32_e32 v1, s28
	s_movk_i32 s2, 0xf0
	v_or_b32_e32 v13, s4, v15
	v_mov_b32_e32 v14, s5
	s_addc_u32 s1, s5, 0
	v_mov_b32_e32 v2, s29
	v_cmp_gt_u32_e64 s[2:3], s2, v0
	v_cmp_le_u64_e32 vcc, s[0:1], v[1:2]
	v_lshrrev_b32_e32 v17, 3, v0
	s_movk_i32 s0, 0xef
	v_cndmask_b32_e64 v2, 0, 1, s[2:3]
	v_cmp_gt_u64_e64 s[2:3], s[28:29], v[13:14]
	v_mul_lo_u32 v11, s22, v15
	v_mul_lo_u32 v1, s20, v17
	v_cmp_lt_u32_e64 s[0:1], s0, v0
	v_cndmask_b32_e64 v14, 0, 1, s[2:3]
	s_or_b64 s[2:3], s[0:1], vcc
	v_cndmask_b32_e64 v2, v14, v2, s[2:3]
	v_and_b32_e32 v2, 1, v2
	v_add_lshl_u32 v1, v11, v1, 3
	v_cmp_eq_u32_e64 s[2:3], 1, v2
	v_cndmask_b32_e64 v12, -1, v1, s[2:3]
	v_add_u32_e32 v1, 30, v17
	v_mul_lo_u32 v1, s20, v1
	v_add_u32_e32 v2, 60, v17
	v_mul_lo_u32 v2, s20, v2
	v_lshlrev_b32_e32 v3, 3, v3
	v_add_lshl_u32 v1, v11, v1, 3
	v_cndmask_b32_e64 v18, -1, v1, s[2:3]
	v_add_lshl_u32 v1, v11, v2, 3
	v_add_u32_e32 v2, 0x5a, v17
	v_readfirstlane_b32 s9, v3
	v_mul_lo_u32 v2, s20, v2
	v_add_u32_e32 v3, 0x78, v17
	v_mul_lo_u32 v3, s20, v3
	v_cndmask_b32_e64 v21, -1, v1, s[2:3]
	v_add_lshl_u32 v1, v11, v2, 3
	v_cndmask_b32_e64 v22, -1, v1, s[2:3]
	v_add_lshl_u32 v1, v11, v3, 3
	v_add_u32_e32 v2, 0x96, v17
	v_add_u32_e32 v3, 0xb4, v17
	v_mul_lo_u32 v2, s20, v2
	v_mul_lo_u32 v3, s20, v3
	s_mov_b32 s7, 0x20000
	s_mov_b32 s6, -2
	s_mov_b32 s4, s12
	s_mov_b32 s5, s13
	v_cndmask_b32_e64 v1, -1, v1, s[2:3]
	v_add_lshl_u32 v2, v11, v2, 3
	v_add_lshl_u32 v3, v11, v3, 3
	v_cndmask_b32_e64 v2, -1, v2, s[2:3]
	v_cndmask_b32_e64 v5, -1, v3, s[2:3]
	buffer_load_dwordx2 v[3:4], v1, s[4:7], s9 offen
	buffer_load_dwordx2 v[24:25], v2, s[4:7], s9 offen
	buffer_load_dwordx2 v[19:20], v5, s[4:7], s9 offen
	v_add_u32_e32 v1, 0xd2, v17
	v_mul_lo_u32 v23, s20, v1
	buffer_load_dwordx2 v[5:6], v12, s[4:7], s9 offen
	buffer_load_dwordx2 v[1:2], v18, s[4:7], s9 offen
	;; [unrolled: 1-line block ×4, first 2 shown]
	v_add_lshl_u32 v11, v11, v23, 3
	v_cndmask_b32_e64 v11, -1, v11, s[2:3]
	buffer_load_dwordx2 v[26:27], v11, s[4:7], s9 offen
	v_lshlrev_b32_e32 v11, 6, v17
	s_waitcnt vmcnt(4)
	v_sub_f32_e32 v12, v5, v3
	v_sub_f32_e32 v21, v6, v4
	s_waitcnt vmcnt(2)
	v_sub_f32_e32 v19, v9, v19
	v_sub_f32_e32 v23, v10, v20
	;; [unrolled: 1-line block ×5, first 2 shown]
	v_add_f32_e32 v29, v21, v19
	s_waitcnt vmcnt(0)
	v_sub_f32_e32 v26, v7, v26
	v_sub_f32_e32 v22, v8, v27
	;; [unrolled: 1-line block ×3, first 2 shown]
	v_fma_f32 v25, v12, 2.0, -v28
	v_fma_f32 v27, v21, 2.0, -v29
	v_add_f32_e32 v31, v20, v26
	v_fma_f32 v18, v24, 2.0, -v30
	v_mov_b32_e32 v3, v25
	v_mov_b32_e32 v4, v27
	v_fma_f32 v32, v20, 2.0, -v31
	v_fmac_f32_e32 v3, 0xbf3504f3, v18
	v_fmac_f32_e32 v4, 0xbf3504f3, v32
	s_and_saveexec_b64 s[2:3], s[0:1]
	s_xor_b64 s[0:1], exec, s[2:3]
; %bb.12:
	v_lshlrev_b32_e32 v11, 6, v17
                                        ; implicit-def: $vgpr12
                                        ; implicit-def: $vgpr21
                                        ; implicit-def: $vgpr19
                                        ; implicit-def: $vgpr23
                                        ; implicit-def: $vgpr24
                                        ; implicit-def: $vgpr20
                                        ; implicit-def: $vgpr26
                                        ; implicit-def: $vgpr22
                                        ; implicit-def: $vgpr28
                                        ; implicit-def: $vgpr29
                                        ; implicit-def: $vgpr25
                                        ; implicit-def: $vgpr27
                                        ; implicit-def: $vgpr30
                                        ; implicit-def: $vgpr31
                                        ; implicit-def: $vgpr5_vgpr6
                                        ; implicit-def: $vgpr1_vgpr2
                                        ; implicit-def: $vgpr9_vgpr10
                                        ; implicit-def: $vgpr7_vgpr8
; %bb.13:
	s_or_saveexec_b64 s[0:1], s[0:1]
	s_load_dwordx2 s[2:3], s[18:19], 0x0
	v_fmac_f32_e32 v3, 0xbf3504f3, v32
	v_fmac_f32_e32 v4, 0x3f3504f3, v18
	v_lshlrev_b32_e32 v18, 3, v15
	s_xor_b64 exec, exec, s[0:1]
	s_cbranch_execz .LBB0_15
; %bb.14:
	v_fma_f32 v24, v1, 2.0, -v24
	v_fma_f32 v1, v7, 2.0, -v26
	;; [unrolled: 1-line block ×4, first 2 shown]
	v_sub_f32_e32 v7, v24, v1
	v_fma_f32 v12, v5, 2.0, -v12
	v_fma_f32 v1, v9, 2.0, -v19
	v_sub_f32_e32 v23, v21, v6
	v_sub_f32_e32 v19, v12, v1
	v_fma_f32 v20, v2, 2.0, -v20
	v_fma_f32 v1, v8, 2.0, -v22
	v_add_f32_e32 v6, v23, v7
	v_sub_f32_e32 v8, v20, v1
	v_fma_f32 v12, v12, 2.0, -v19
	v_fma_f32 v7, v24, 2.0, -v7
	v_mov_b32_e32 v33, v29
	v_mov_b32_e32 v32, v28
	v_sub_f32_e32 v5, v19, v8
	v_fma_f32 v21, v21, 2.0, -v23
	v_fma_f32 v8, v20, 2.0, -v8
	v_sub_f32_e32 v7, v12, v7
	v_fmac_f32_e32 v33, 0x3f3504f3, v31
	v_fmac_f32_e32 v32, 0x3f3504f3, v30
	v_fma_f32 v9, v19, 2.0, -v5
	v_sub_f32_e32 v8, v21, v8
	v_fma_f32 v19, v12, 2.0, -v7
	v_lshlrev_b32_e32 v12, 9, v17
	v_fmac_f32_e32 v33, 0x3f3504f3, v30
	v_fmac_f32_e32 v32, 0xbf3504f3, v31
	v_fma_f32 v2, v27, 2.0, -v4
	v_fma_f32 v1, v25, 2.0, -v3
	;; [unrolled: 1-line block ×3, first 2 shown]
	v_add3_u32 v12, 0, v12, v18
	v_fma_f32 v29, v29, 2.0, -v33
	v_fma_f32 v28, v28, 2.0, -v32
	;; [unrolled: 1-line block ×3, first 2 shown]
	ds_write2_b64 v12, v[19:20], v[1:2] offset1:8
	ds_write2_b64 v12, v[9:10], v[28:29] offset0:16 offset1:24
	ds_write2_b64 v12, v[7:8], v[3:4] offset0:32 offset1:40
	;; [unrolled: 1-line block ×3, first 2 shown]
.LBB0_15:
	s_or_b64 exec, exec, s[0:1]
	v_bfe_u32 v32, v0, 3, 3
	v_lshlrev_b32_e32 v1, 5, v32
	s_waitcnt lgkmcnt(0)
	s_barrier
	global_load_dwordx4 v[20:23], v1, s[24:25]
	global_load_dwordx4 v[24:27], v1, s[24:25] offset:16
	v_add3_u32 v19, 0, v11, v18
	ds_read2_b32 v[7:8], v19 offset1:1
	ds_read2st64_b64 v[9:12], v19 offset0:6 offset1:12
	ds_read2st64_b64 v[28:31], v19 offset0:18 offset1:24
	s_movk_i32 s3, 0x140
	v_cmp_gt_u32_e64 s[0:1], s3, v0
	s_waitcnt vmcnt(0) lgkmcnt(0)
	s_barrier
	v_mul_f32_e32 v1, v21, v10
	v_mul_f32_e32 v2, v21, v9
	;; [unrolled: 1-line block ×4, first 2 shown]
	v_fma_f32 v1, v20, v9, -v1
	v_fmac_f32_e32 v2, v20, v10
	v_fma_f32 v5, v22, v11, -v5
	v_mul_f32_e32 v9, v25, v29
	v_mul_f32_e32 v10, v25, v28
	v_mul_f32_e32 v11, v27, v31
	v_fmac_f32_e32 v6, v22, v12
	v_mul_f32_e32 v20, v27, v30
	v_fma_f32 v9, v24, v28, -v9
	v_fmac_f32_e32 v10, v24, v29
	v_fma_f32 v21, v26, v30, -v11
	v_add_f32_e32 v11, v1, v7
	v_add_f32_e32 v29, v8, v2
	v_fmac_f32_e32 v20, v26, v31
	v_add_f32_e32 v12, v5, v9
	v_sub_f32_e32 v23, v6, v10
	v_sub_f32_e32 v24, v1, v5
	;; [unrolled: 1-line block ×3, first 2 shown]
	v_add_f32_e32 v26, v1, v21
	v_sub_f32_e32 v27, v5, v1
	v_add_f32_e32 v30, v6, v10
	v_sub_f32_e32 v33, v5, v9
	;; [unrolled: 2-line block ×3, first 2 shown]
	v_sub_f32_e32 v34, v6, v2
	v_add_f32_e32 v6, v29, v6
	v_sub_f32_e32 v31, v1, v21
	v_fma_f32 v1, -0.5, v12, v7
	v_sub_f32_e32 v12, v20, v10
	v_add_f32_e32 v24, v24, v25
	v_add_f32_e32 v25, v2, v20
	v_fma_f32 v7, -0.5, v26, v7
	v_sub_f32_e32 v26, v10, v20
	v_add_f32_e32 v10, v6, v10
	v_sub_f32_e32 v22, v2, v20
	v_sub_f32_e32 v28, v9, v21
	v_fma_f32 v2, -0.5, v30, v8
	v_fmac_f32_e32 v8, -0.5, v25
	v_add_f32_e32 v10, v10, v20
	v_lshrrev_b32_e32 v20, 6, v0
	v_add_f32_e32 v27, v27, v28
	v_add_f32_e32 v28, v11, v12
	;; [unrolled: 1-line block ×3, first 2 shown]
	v_mov_b32_e32 v11, v1
	v_mov_b32_e32 v5, v7
	;; [unrolled: 1-line block ×4, first 2 shown]
	v_mul_u32_u24_e32 v20, 40, v20
	v_fmac_f32_e32 v1, 0xbf737871, v22
	v_fmac_f32_e32 v7, 0x3f737871, v23
	;; [unrolled: 1-line block ×8, first 2 shown]
	v_or_b32_e32 v20, v20, v32
	v_add_f32_e32 v25, v34, v26
	v_fmac_f32_e32 v1, 0xbf167918, v23
	v_fmac_f32_e32 v7, 0xbf167918, v22
	;; [unrolled: 1-line block ×8, first 2 shown]
	v_lshlrev_b32_e32 v20, 6, v20
	v_add_f32_e32 v9, v9, v21
	v_fmac_f32_e32 v1, 0x3e9e377a, v24
	v_fmac_f32_e32 v7, 0x3e9e377a, v27
	;; [unrolled: 1-line block ×8, first 2 shown]
	v_add3_u32 v18, 0, v20, v18
	ds_write2st64_b64 v18, v[9:10], v[11:12] offset1:1
	ds_write2st64_b64 v18, v[5:6], v[7:8] offset0:2 offset1:3
	ds_write_b64 v18, v[1:2] offset:2048
	s_waitcnt lgkmcnt(0)
	s_barrier
	s_and_saveexec_b64 s[4:5], s[0:1]
	s_cbranch_execz .LBB0_17
; %bb.16:
	ds_read2st64_b64 v[9:12], v19 offset1:5
	ds_read2st64_b64 v[5:8], v19 offset0:10 offset1:15
	ds_read2st64_b64 v[1:4], v19 offset0:20 offset1:25
.LBB0_17:
	s_or_b64 exec, exec, s[4:5]
	v_mul_lo_u16_e32 v18, 13, v17
	v_lshrrev_b16_e32 v18, 9, v18
	v_mul_lo_u16_e32 v18, 40, v18
	v_sub_u16_e32 v17, v17, v18
	v_and_b32_e32 v17, 0xff, v17
	v_mul_u32_u24_e32 v18, 5, v17
	v_lshlrev_b32_e32 v28, 3, v18
	global_load_dwordx2 v[26:27], v28, s[24:25] offset:288
	global_load_dwordx4 v[18:21], v28, s[24:25] offset:272
	global_load_dwordx4 v[22:25], v28, s[24:25] offset:256
	s_mul_i32 s0, s2, s26
	v_add_u32_e32 v16, s0, v16
	s_movk_i32 s0, 0xf0
	s_movk_i32 s2, 0x13f
	s_waitcnt vmcnt(0) lgkmcnt(2)
	v_mul_f32_e32 v28, v12, v23
	v_fma_f32 v28, v11, v22, -v28
	v_mul_f32_e32 v11, v11, v23
	v_fmac_f32_e32 v11, v12, v22
	s_waitcnt lgkmcnt(1)
	v_mul_f32_e32 v12, v6, v25
	v_fma_f32 v12, v5, v24, -v12
	v_mul_f32_e32 v5, v5, v25
	v_fmac_f32_e32 v5, v6, v24
	v_mul_f32_e32 v6, v8, v19
	v_fma_f32 v6, v7, v18, -v6
	v_mul_f32_e32 v7, v7, v19
	v_fmac_f32_e32 v7, v8, v18
	s_waitcnt lgkmcnt(0)
	v_mul_f32_e32 v8, v2, v21
	v_fma_f32 v8, v1, v20, -v8
	v_mul_f32_e32 v1, v1, v21
	v_fmac_f32_e32 v1, v2, v20
	v_mul_f32_e32 v2, v4, v27
	v_fma_f32 v2, v3, v26, -v2
	v_mul_f32_e32 v3, v3, v27
	v_fmac_f32_e32 v3, v4, v26
	v_add_f32_e32 v4, v9, v12
	v_add_f32_e32 v18, v4, v8
	v_add_f32_e32 v4, v12, v8
	v_fmac_f32_e32 v9, -0.5, v4
	v_sub_f32_e32 v4, v5, v1
	v_mov_b32_e32 v19, v9
	v_fmac_f32_e32 v19, 0x3f5db3d7, v4
	v_fmac_f32_e32 v9, 0xbf5db3d7, v4
	v_add_f32_e32 v4, v10, v5
	v_add_f32_e32 v21, v4, v1
	;; [unrolled: 1-line block ×3, first 2 shown]
	v_fmac_f32_e32 v10, -0.5, v1
	v_sub_f32_e32 v1, v12, v8
	v_mov_b32_e32 v8, v10
	v_add_f32_e32 v4, v6, v2
	v_fmac_f32_e32 v8, 0xbf5db3d7, v1
	v_fmac_f32_e32 v10, 0x3f5db3d7, v1
	v_add_f32_e32 v1, v28, v6
	v_fmac_f32_e32 v28, -0.5, v4
	v_sub_f32_e32 v4, v7, v3
	v_mov_b32_e32 v5, v28
	v_fmac_f32_e32 v5, 0x3f5db3d7, v4
	v_fmac_f32_e32 v28, 0xbf5db3d7, v4
	v_add_f32_e32 v4, v11, v7
	v_add_f32_e32 v22, v4, v3
	;; [unrolled: 1-line block ×3, first 2 shown]
	v_fmac_f32_e32 v11, -0.5, v3
	v_add_f32_e32 v1, v1, v2
	v_sub_f32_e32 v2, v6, v2
	v_mov_b32_e32 v3, v11
	v_fmac_f32_e32 v3, 0xbf5db3d7, v2
	v_fmac_f32_e32 v11, 0x3f5db3d7, v2
	v_mul_f32_e32 v25, 0xbf5db3d7, v5
	v_mul_f32_e32 v2, 0x3f5db3d7, v3
	v_mul_f32_e32 v7, -0.5, v28
	v_fmac_f32_e32 v25, 0.5, v3
	v_mul_f32_e32 v3, -0.5, v11
	v_fmac_f32_e32 v7, 0x3f5db3d7, v11
	v_fmac_f32_e32 v3, 0xbf5db3d7, v28
	v_fmac_f32_e32 v2, 0.5, v5
	v_add_f32_e32 v6, v9, v7
	v_add_f32_e32 v5, v8, v25
	;; [unrolled: 1-line block ×3, first 2 shown]
	v_sub_f32_e32 v7, v9, v7
	v_sub_f32_e32 v9, v8, v25
	;; [unrolled: 1-line block ×3, first 2 shown]
	v_mul_lo_u32 v3, v13, v17
	v_mov_b32_e32 v10, 3
	v_add_f32_e32 v23, v18, v1
	v_add_f32_e32 v4, v19, v2
	v_sub_f32_e32 v12, v18, v1
	v_sub_f32_e32 v11, v19, v2
	v_lshlrev_b32_sdwa v1, v10, v3 dst_sel:DWORD dst_unused:UNUSED_PAD src0_sel:DWORD src1_sel:BYTE_0
	v_lshlrev_b32_sdwa v19, v10, v3 dst_sel:DWORD dst_unused:UNUSED_PAD src0_sel:DWORD src1_sel:BYTE_1
	v_add_f32_e32 v24, v21, v22
	v_sub_f32_e32 v18, v21, v22
	global_load_dwordx2 v[1:2], v1, s[16:17]
	s_nop 0
	global_load_dwordx2 v[21:22], v19, s[16:17] offset:2048
	s_waitcnt vmcnt(0)
	v_mul_f32_e32 v19, v2, v22
	v_fma_f32 v25, v1, v21, -v19
	v_mul_f32_e32 v22, v1, v22
	v_bfe_u32 v1, v3, 16, 8
	v_mov_b32_e32 v19, 0x1000
	v_lshl_or_b32 v1, v1, 3, v19
	v_fmac_f32_e32 v22, v2, v21
	global_load_dwordx2 v[1:2], v1, s[16:17]
	s_waitcnt vmcnt(0)
	v_mul_f32_e32 v3, v22, v2
	v_mul_f32_e32 v2, v25, v2
	v_fmac_f32_e32 v2, v1, v22
	v_fma_f32 v3, v1, v25, -v3
	v_mul_f32_e32 v1, v24, v2
	v_mul_f32_e32 v2, v23, v2
	v_fma_f32 v1, v23, v3, -v1
	v_fmac_f32_e32 v2, v24, v3
	v_add_u32_e32 v3, 40, v17
	v_mul_lo_u32 v3, v13, v3
	v_lshlrev_b32_sdwa v21, v10, v3 dst_sel:DWORD dst_unused:UNUSED_PAD src0_sel:DWORD src1_sel:BYTE_0
	v_lshlrev_b32_sdwa v23, v10, v3 dst_sel:DWORD dst_unused:UNUSED_PAD src0_sel:DWORD src1_sel:BYTE_1
	global_load_dwordx2 v[21:22], v21, s[16:17]
	v_bfe_u32 v3, v3, 16, 8
	global_load_dwordx2 v[23:24], v23, s[16:17] offset:2048
	v_lshl_or_b32 v3, v3, 3, v19
	s_waitcnt vmcnt(0)
	v_mul_f32_e32 v25, v22, v24
	v_mul_f32_e32 v24, v21, v24
	v_fma_f32 v25, v21, v23, -v25
	v_fmac_f32_e32 v24, v22, v23
	global_load_dwordx2 v[21:22], v3, s[16:17]
	s_waitcnt vmcnt(0)
	v_mul_f32_e32 v3, v24, v22
	v_mul_f32_e32 v22, v25, v22
	v_fmac_f32_e32 v22, v21, v24
	v_fma_f32 v23, v21, v25, -v3
	v_mul_f32_e32 v3, v5, v22
	v_fma_f32 v3, v4, v23, -v3
	v_mul_f32_e32 v4, v4, v22
	v_fmac_f32_e32 v4, v5, v23
	v_add_u32_e32 v5, 0x50, v17
	v_mul_lo_u32 v5, v13, v5
	v_lshlrev_b32_sdwa v21, v10, v5 dst_sel:DWORD dst_unused:UNUSED_PAD src0_sel:DWORD src1_sel:BYTE_0
	v_lshlrev_b32_sdwa v23, v10, v5 dst_sel:DWORD dst_unused:UNUSED_PAD src0_sel:DWORD src1_sel:BYTE_1
	global_load_dwordx2 v[21:22], v21, s[16:17]
	v_bfe_u32 v5, v5, 16, 8
	global_load_dwordx2 v[23:24], v23, s[16:17] offset:2048
	v_lshl_or_b32 v5, v5, 3, v19
	s_waitcnt vmcnt(0)
	v_mul_f32_e32 v25, v22, v24
	v_mul_f32_e32 v24, v21, v24
	v_fma_f32 v25, v21, v23, -v25
	v_fmac_f32_e32 v24, v22, v23
	global_load_dwordx2 v[21:22], v5, s[16:17]
	s_waitcnt vmcnt(0)
	v_mul_f32_e32 v5, v24, v22
	v_mul_f32_e32 v22, v25, v22
	v_fmac_f32_e32 v22, v21, v24
	v_fma_f32 v23, v21, v25, -v5
	v_mul_f32_e32 v5, v20, v22
	v_fma_f32 v5, v6, v23, -v5
	v_mul_f32_e32 v6, v6, v22
	v_fmac_f32_e32 v6, v20, v23
	v_add_u32_e32 v20, 0x78, v17
	v_mul_lo_u32 v24, v13, v20
	v_lshlrev_b32_sdwa v20, v10, v24 dst_sel:DWORD dst_unused:UNUSED_PAD src0_sel:DWORD src1_sel:BYTE_0
	v_lshlrev_b32_sdwa v22, v10, v24 dst_sel:DWORD dst_unused:UNUSED_PAD src0_sel:DWORD src1_sel:BYTE_1
	global_load_dwordx2 v[20:21], v20, s[16:17]
	s_nop 0
	global_load_dwordx2 v[22:23], v22, s[16:17] offset:2048
	s_waitcnt vmcnt(0)
	v_mul_f32_e32 v25, v21, v23
	v_fma_f32 v25, v20, v22, -v25
	v_mul_f32_e32 v23, v20, v23
	v_bfe_u32 v20, v24, 16, 8
	v_lshl_or_b32 v20, v20, 3, v19
	v_fmac_f32_e32 v23, v21, v22
	global_load_dwordx2 v[20:21], v20, s[16:17]
	s_waitcnt vmcnt(0)
	v_mul_f32_e32 v22, v23, v21
	v_mul_f32_e32 v21, v25, v21
	v_fmac_f32_e32 v21, v20, v23
	v_fma_f32 v22, v20, v25, -v22
	v_mul_f32_e32 v20, v18, v21
	v_fma_f32 v20, v12, v22, -v20
	v_mul_f32_e32 v21, v12, v21
	v_add_u32_e32 v12, 0xa0, v17
	v_mul_lo_u32 v12, v13, v12
	v_fmac_f32_e32 v21, v18, v22
	v_lshlrev_b32_sdwa v18, v10, v12 dst_sel:DWORD dst_unused:UNUSED_PAD src0_sel:DWORD src1_sel:BYTE_0
	global_load_dwordx2 v[22:23], v18, s[16:17]
	v_lshlrev_b32_sdwa v18, v10, v12 dst_sel:DWORD dst_unused:UNUSED_PAD src0_sel:DWORD src1_sel:BYTE_1
	global_load_dwordx2 v[24:25], v18, s[16:17] offset:2048
	v_bfe_u32 v12, v12, 16, 8
	v_lshl_or_b32 v12, v12, 3, v19
	s_waitcnt vmcnt(0)
	v_mul_f32_e32 v18, v23, v25
	v_mul_f32_e32 v25, v22, v25
	v_fma_f32 v18, v22, v24, -v18
	v_fmac_f32_e32 v25, v23, v24
	global_load_dwordx2 v[22:23], v12, s[16:17]
	s_waitcnt vmcnt(0)
	v_mul_f32_e32 v12, v25, v23
	v_fma_f32 v12, v22, v18, -v12
	v_mul_f32_e32 v18, v18, v23
	v_fmac_f32_e32 v18, v22, v25
	v_mul_f32_e32 v23, v11, v18
	v_mul_f32_e32 v22, v9, v18
	v_fmac_f32_e32 v23, v9, v12
	v_add_u32_e32 v9, 0xc8, v17
	v_mul_lo_u32 v13, v13, v9
	v_fma_f32 v22, v11, v12, -v22
	v_lshlrev_b32_sdwa v9, v10, v13 dst_sel:DWORD dst_unused:UNUSED_PAD src0_sel:DWORD src1_sel:BYTE_0
	global_load_dwordx2 v[11:12], v9, s[16:17]
	v_lshlrev_b32_sdwa v9, v10, v13 dst_sel:DWORD dst_unused:UNUSED_PAD src0_sel:DWORD src1_sel:BYTE_1
	global_load_dwordx2 v[9:10], v9, s[16:17] offset:2048
	s_waitcnt vmcnt(0)
	v_mul_f32_e32 v18, v12, v10
	v_fma_f32 v18, v11, v9, -v18
	v_mul_f32_e32 v11, v11, v10
	v_fmac_f32_e32 v11, v12, v9
	v_bfe_u32 v9, v13, 16, 8
	v_lshl_or_b32 v9, v9, 3, v19
	global_load_dwordx2 v[9:10], v9, s[16:17]
	s_waitcnt vmcnt(0)
	v_mul_f32_e32 v12, v11, v10
	v_mul_f32_e32 v10, v18, v10
	v_fmac_f32_e32 v10, v9, v11
	v_fma_f32 v12, v9, v18, -v12
	v_mul_f32_e32 v9, v8, v10
	v_mul_f32_e32 v10, v7, v10
	v_fmac_f32_e32 v10, v8, v12
	v_mul_u32_u24_e32 v8, 0xcd, v0
	v_mul_lo_u16_sdwa v8, v8, s0 dst_sel:DWORD dst_unused:UNUSED_PAD src0_sel:WORD_1 src1_sel:DWORD
	v_add_u32_e32 v8, v8, v17
	v_fma_f32 v9, v7, v12, -v9
	v_mul_lo_u32 v7, s10, v15
	v_mul_lo_u32 v11, s8, v8
	v_cmp_gt_u32_e64 s[0:1], s3, v0
	v_cmp_lt_u32_e64 s[2:3], s2, v0
	s_or_b64 vcc, s[2:3], vcc
	v_cndmask_b32_e64 v0, 0, 1, s[0:1]
	v_cndmask_b32_e32 v0, v14, v0, vcc
	v_and_b32_e32 v0, 1, v0
	v_cmp_eq_u32_e32 vcc, 1, v0
	v_add_lshl_u32 v0, v7, v11, 3
	v_lshlrev_b32_e32 v11, 3, v16
	v_cndmask_b32_e32 v0, -1, v0, vcc
	s_mov_b32 s3, 0x20000
	s_mov_b32 s2, -2
	s_mov_b32 s0, s14
	s_mov_b32 s1, s15
	v_readfirstlane_b32 s4, v11
	s_nop 4
	buffer_store_dwordx2 v[1:2], v0, s[0:3], s4 offen
	v_add_u32_e32 v0, 40, v8
	v_mul_lo_u32 v0, s8, v0
	v_add_lshl_u32 v0, v7, v0, 3
	v_cndmask_b32_e32 v0, -1, v0, vcc
	buffer_store_dwordx2 v[3:4], v0, s[0:3], s4 offen
	v_add_u32_e32 v0, 0x50, v8
	v_mul_lo_u32 v0, s8, v0
	v_add_lshl_u32 v0, v7, v0, 3
	v_cndmask_b32_e32 v0, -1, v0, vcc
	buffer_store_dwordx2 v[5:6], v0, s[0:3], s4 offen
	v_add_u32_e32 v0, 0x78, v8
	v_mul_lo_u32 v0, s8, v0
	v_add_lshl_u32 v0, v7, v0, 3
	v_cndmask_b32_e32 v0, -1, v0, vcc
	buffer_store_dwordx2 v[20:21], v0, s[0:3], s4 offen
	v_add_u32_e32 v0, 0xa0, v8
	v_mul_lo_u32 v0, s8, v0
	v_add_lshl_u32 v0, v7, v0, 3
	v_cndmask_b32_e32 v0, -1, v0, vcc
	buffer_store_dwordx2 v[22:23], v0, s[0:3], s4 offen
	v_add_u32_e32 v0, 0xc8, v8
	v_mul_lo_u32 v0, s8, v0
	v_add_lshl_u32 v0, v7, v0, 3
	v_cndmask_b32_e32 v0, -1, v0, vcc
	buffer_store_dwordx2 v[9:10], v0, s[0:3], s4 offen
	s_endpgm
	.section	.rodata,"a",@progbits
	.p2align	6, 0x0
	.amdhsa_kernel fft_rtc_fwd_len240_factors_8_5_6_wgs_384_tpt_48_sp_op_CI_CI_sbcc_twdbase8_3step_dirReg_intrinsicReadWrite
		.amdhsa_group_segment_fixed_size 0
		.amdhsa_private_segment_fixed_size 0
		.amdhsa_kernarg_size 112
		.amdhsa_user_sgpr_count 6
		.amdhsa_user_sgpr_private_segment_buffer 1
		.amdhsa_user_sgpr_dispatch_ptr 0
		.amdhsa_user_sgpr_queue_ptr 0
		.amdhsa_user_sgpr_kernarg_segment_ptr 1
		.amdhsa_user_sgpr_dispatch_id 0
		.amdhsa_user_sgpr_flat_scratch_init 0
		.amdhsa_user_sgpr_private_segment_size 0
		.amdhsa_uses_dynamic_stack 0
		.amdhsa_system_sgpr_private_segment_wavefront_offset 0
		.amdhsa_system_sgpr_workgroup_id_x 1
		.amdhsa_system_sgpr_workgroup_id_y 0
		.amdhsa_system_sgpr_workgroup_id_z 0
		.amdhsa_system_sgpr_workgroup_info 0
		.amdhsa_system_vgpr_workitem_id 0
		.amdhsa_next_free_vgpr 35
		.amdhsa_next_free_sgpr 50
		.amdhsa_reserve_vcc 1
		.amdhsa_reserve_flat_scratch 0
		.amdhsa_float_round_mode_32 0
		.amdhsa_float_round_mode_16_64 0
		.amdhsa_float_denorm_mode_32 3
		.amdhsa_float_denorm_mode_16_64 3
		.amdhsa_dx10_clamp 1
		.amdhsa_ieee_mode 1
		.amdhsa_fp16_overflow 0
		.amdhsa_exception_fp_ieee_invalid_op 0
		.amdhsa_exception_fp_denorm_src 0
		.amdhsa_exception_fp_ieee_div_zero 0
		.amdhsa_exception_fp_ieee_overflow 0
		.amdhsa_exception_fp_ieee_underflow 0
		.amdhsa_exception_fp_ieee_inexact 0
		.amdhsa_exception_int_div_zero 0
	.end_amdhsa_kernel
	.text
.Lfunc_end0:
	.size	fft_rtc_fwd_len240_factors_8_5_6_wgs_384_tpt_48_sp_op_CI_CI_sbcc_twdbase8_3step_dirReg_intrinsicReadWrite, .Lfunc_end0-fft_rtc_fwd_len240_factors_8_5_6_wgs_384_tpt_48_sp_op_CI_CI_sbcc_twdbase8_3step_dirReg_intrinsicReadWrite
                                        ; -- End function
	.section	.AMDGPU.csdata,"",@progbits
; Kernel info:
; codeLenInByte = 4428
; NumSgprs: 54
; NumVgprs: 35
; ScratchSize: 0
; MemoryBound: 0
; FloatMode: 240
; IeeeMode: 1
; LDSByteSize: 0 bytes/workgroup (compile time only)
; SGPRBlocks: 6
; VGPRBlocks: 8
; NumSGPRsForWavesPerEU: 54
; NumVGPRsForWavesPerEU: 35
; Occupancy: 7
; WaveLimiterHint : 0
; COMPUTE_PGM_RSRC2:SCRATCH_EN: 0
; COMPUTE_PGM_RSRC2:USER_SGPR: 6
; COMPUTE_PGM_RSRC2:TRAP_HANDLER: 0
; COMPUTE_PGM_RSRC2:TGID_X_EN: 1
; COMPUTE_PGM_RSRC2:TGID_Y_EN: 0
; COMPUTE_PGM_RSRC2:TGID_Z_EN: 0
; COMPUTE_PGM_RSRC2:TIDIG_COMP_CNT: 0
	.type	__hip_cuid_cd73181ff29fb510,@object ; @__hip_cuid_cd73181ff29fb510
	.section	.bss,"aw",@nobits
	.globl	__hip_cuid_cd73181ff29fb510
__hip_cuid_cd73181ff29fb510:
	.byte	0                               ; 0x0
	.size	__hip_cuid_cd73181ff29fb510, 1

	.ident	"AMD clang version 19.0.0git (https://github.com/RadeonOpenCompute/llvm-project roc-6.4.0 25133 c7fe45cf4b819c5991fe208aaa96edf142730f1d)"
	.section	".note.GNU-stack","",@progbits
	.addrsig
	.addrsig_sym __hip_cuid_cd73181ff29fb510
	.amdgpu_metadata
---
amdhsa.kernels:
  - .args:
      - .actual_access:  read_only
        .address_space:  global
        .offset:         0
        .size:           8
        .value_kind:     global_buffer
      - .address_space:  global
        .offset:         8
        .size:           8
        .value_kind:     global_buffer
      - .offset:         16
        .size:           8
        .value_kind:     by_value
      - .actual_access:  read_only
        .address_space:  global
        .offset:         24
        .size:           8
        .value_kind:     global_buffer
      - .actual_access:  read_only
        .address_space:  global
        .offset:         32
        .size:           8
        .value_kind:     global_buffer
      - .actual_access:  read_only
        .address_space:  global
        .offset:         40
        .size:           8
        .value_kind:     global_buffer
      - .offset:         48
        .size:           8
        .value_kind:     by_value
      - .actual_access:  read_only
        .address_space:  global
        .offset:         56
        .size:           8
        .value_kind:     global_buffer
      - .actual_access:  read_only
        .address_space:  global
        .offset:         64
        .size:           8
        .value_kind:     global_buffer
      - .offset:         72
        .size:           4
        .value_kind:     by_value
      - .actual_access:  read_only
        .address_space:  global
        .offset:         80
        .size:           8
        .value_kind:     global_buffer
      - .actual_access:  read_only
        .address_space:  global
        .offset:         88
        .size:           8
        .value_kind:     global_buffer
      - .address_space:  global
        .offset:         96
        .size:           8
        .value_kind:     global_buffer
      - .address_space:  global
        .offset:         104
        .size:           8
        .value_kind:     global_buffer
    .group_segment_fixed_size: 0
    .kernarg_segment_align: 8
    .kernarg_segment_size: 112
    .language:       OpenCL C
    .language_version:
      - 2
      - 0
    .max_flat_workgroup_size: 384
    .name:           fft_rtc_fwd_len240_factors_8_5_6_wgs_384_tpt_48_sp_op_CI_CI_sbcc_twdbase8_3step_dirReg_intrinsicReadWrite
    .private_segment_fixed_size: 0
    .sgpr_count:     54
    .sgpr_spill_count: 0
    .symbol:         fft_rtc_fwd_len240_factors_8_5_6_wgs_384_tpt_48_sp_op_CI_CI_sbcc_twdbase8_3step_dirReg_intrinsicReadWrite.kd
    .uniform_work_group_size: 1
    .uses_dynamic_stack: false
    .vgpr_count:     35
    .vgpr_spill_count: 0
    .wavefront_size: 64
amdhsa.target:   amdgcn-amd-amdhsa--gfx906
amdhsa.version:
  - 1
  - 2
...

	.end_amdgpu_metadata
